;; amdgpu-corpus repo=zjin-lcf/HeCBench kind=compiled arch=gfx906 opt=O3
	.amdgcn_target "amdgcn-amd-amdhsa--gfx906"
	.amdhsa_code_object_version 6
	.text
	.protected	_Z17CompressionKerneliPKyPcPKiPi ; -- Begin function _Z17CompressionKerneliPKyPcPKiPi
	.globl	_Z17CompressionKerneliPKyPcPKiPi
	.p2align	8
	.type	_Z17CompressionKerneliPKyPcPKiPi,@function
_Z17CompressionKerneliPKyPcPKiPi:       ; @_Z17CompressionKerneliPKyPcPKiPi
; %bb.0:
	s_load_dwordx2 s[0:1], s[4:5], 0x18
	s_load_dword s2, s[4:5], 0x34
	v_lshrrev_b32_e32 v1, 5, v0
	v_mul_u32_u24_e32 v1, 48, v1
	v_and_b32_e32 v11, 31, v0
	v_lshlrev_b32_e32 v13, 2, v1
	s_waitcnt lgkmcnt(0)
	s_and_b32 s2, s2, 0xffff
	s_mul_i32 s6, s6, s2
	v_add_u32_e32 v2, s6, v0
	v_lshrrev_b32_e32 v3, 5, v2
	v_lshl_add_u32 v14, v11, 2, v13
	v_mov_b32_e32 v1, 0
	v_cmp_lt_u32_e32 vcc, 31, v2
	v_lshlrev_b32_e32 v12, 2, v3
	ds_write_b32 v14, v1
	s_and_saveexec_b64 s[2:3], vcc
	s_cbranch_execz .LBB0_2
; %bb.1:
	global_load_dword v1, v12, s[0:1] offset:-4
.LBB0_2:
	s_or_b64 exec, exec, s[2:3]
	global_load_dword v15, v12, s[0:1]
	s_load_dwordx2 s[6:7], s[4:5], 0x20
	s_waitcnt vmcnt(1)
	v_add_u32_e32 v2, 1, v1
	v_lshrrev_b32_e32 v3, 31, v2
	v_add_u32_e32 v2, v2, v3
	v_ashrrev_i32_e32 v2, 1, v2
	v_add_u32_e32 v1, v1, v11
	v_lshl_add_u32 v16, v2, 4, v2
	s_waitcnt vmcnt(0)
	v_cmp_lt_i32_e32 vcc, v1, v15
	s_and_saveexec_b64 s[12:13], vcc
	s_cbranch_execnz .LBB0_5
; %bb.3:
	s_or_b64 exec, exec, s[12:13]
	v_cmp_eq_u32_e32 vcc, 31, v11
	s_and_saveexec_b64 s[0:1], vcc
	s_cbranch_execnz .LBB0_13
.LBB0_4:
	s_endpgm
.LBB0_5:
	s_load_dword s2, s[4:5], 0x0
	s_load_dwordx4 s[8:11], s[4:5], 0x8
	v_mov_b32_e32 v7, 0
	s_mov_b64 s[4:5], 0
	v_mov_b32_e32 v8, 0
	s_waitcnt lgkmcnt(0)
	s_abs_i32 s3, s2
	v_cvt_f32_u32_e32 v2, s3
	s_sub_i32 s0, 0, s3
	v_mov_b32_e32 v17, s9
	v_add_u32_e32 v18, 60, v14
	v_rcp_iflag_f32_e32 v2, v2
                                        ; implicit-def: $vgpr19
	v_mul_f32_e32 v2, 0x4f7ffffe, v2
	v_cvt_u32_f32_e32 v2, v2
	v_mul_lo_u32 v3, s0, v2
	v_mul_hi_u32 v3, v2, v3
	v_add_u32_e32 v2, v2, v3
	v_mad_u64_u32 v[2:3], s[0:1], v11, v2, 0
	v_and_b32_e32 v2, 1, v0
	v_cmp_eq_u32_e32 vcc, 1, v2
	v_mul_lo_u32 v3, v3, s3
	v_add_u32_e32 v2, s2, v11
	v_lshrrev_b32_e32 v0, 1, v11
	v_sub_u32_e32 v3, v11, v3
	v_subrev_u32_e32 v4, s3, v3
	v_cmp_le_u32_e64 s[0:1], s3, v3
	v_cndmask_b32_e64 v3, v3, v4, s[0:1]
	v_subrev_u32_e32 v4, s3, v3
	v_cmp_le_u32_e64 s[0:1], s3, v3
	v_cndmask_b32_e64 v3, v3, v4, s[0:1]
	v_sub_u32_e32 v2, v3, v2
	v_add_u32_e32 v2, 32, v2
	v_ashrrev_i32_e32 v3, 31, v2
	v_lshlrev_b64 v[3:4], 3, v[2:3]
	s_branch .LBB0_7
.LBB0_6:                                ;   in Loop: Header=BB0_7 Depth=1
	s_or_b64 exec, exec, s[2:3]
	v_add_co_u32_e64 v5, s[0:1], v5, v3
	v_addc_co_u32_e64 v6, s[0:1], v6, v4, s[0:1]
	global_load_dwordx2 v[7:8], v[5:6], off
	v_add_u32_e32 v1, 32, v1
	v_cmp_ge_i32_e64 s[0:1], v1, v15
	s_or_b64 s[4:5], s[0:1], s[4:5]
	v_add_u32_e32 v16, v2, v9
	s_andn2_b64 exec, exec, s[4:5]
	s_cbranch_execz .LBB0_12
.LBB0_7:                                ; =>This Loop Header: Depth=1
                                        ;     Child Loop BB0_9 Depth 2
	v_ashrrev_i32_e32 v2, 31, v1
	v_lshlrev_b64 v[5:6], 3, v[1:2]
	v_add_co_u32_e64 v5, s[0:1], s8, v5
	v_addc_co_u32_e64 v6, s[0:1], v17, v6, s[0:1]
	global_load_dwordx2 v[9:10], v[5:6], off
	s_waitcnt vmcnt(0)
	v_sub_co_u32_e64 v2, s[0:1], v9, v7
	v_subb_co_u32_e64 v20, s[0:1], v10, v8, s[0:1]
	v_sub_co_u32_e64 v21, s[0:1], v7, v9
	v_subb_co_u32_e64 v22, s[0:1], v8, v10, s[0:1]
	v_cmp_gt_u64_e64 s[0:1], v[9:10], v[7:8]
	v_cndmask_b32_e64 v7, v21, v2, s[0:1]
	v_cndmask_b32_e64 v8, v22, v20, s[0:1]
	v_ffbh_u32_e32 v9, v7
	v_ffbh_u32_e32 v2, v8
	v_add_u32_e64 v9, v9, 32 clamp
	v_min3_u32 v2, v9, v2, 64
	v_lshrrev_b32_e32 v2, 3, v2
	v_sub_u32_e32 v9, 8, v2
	v_cmp_ne_u32_e64 s[0:1], 6, v2
	v_cndmask_b32_e64 v20, 3, v9, s[0:1]
	ds_write_b32 v14, v20 offset:64
	s_waitcnt lgkmcnt(0)
	ds_read2_b32 v[9:10], v14 offset0:15 offset1:16
	v_cmp_ne_u32_e64 s[0:1], 0, v20
	s_waitcnt lgkmcnt(0)
	v_add_u32_e32 v2, v10, v9
	ds_write_b32 v14, v2 offset:64
	s_waitcnt lgkmcnt(0)
	ds_read2_b32 v[9:10], v14 offset0:14 offset1:16
	s_waitcnt lgkmcnt(0)
	v_add_u32_e32 v2, v10, v9
	ds_write_b32 v14, v2 offset:64
	s_waitcnt lgkmcnt(0)
	ds_read2_b32 v[9:10], v14 offset0:12 offset1:16
	;; [unrolled: 5-line block ×3, first 2 shown]
	s_waitcnt lgkmcnt(0)
	v_add_u32_e32 v2, v10, v9
	ds_write_b32 v14, v2 offset:64
	s_waitcnt lgkmcnt(0)
	ds_read2_b32 v[9:10], v14 offset1:16
	v_add_u32_e32 v2, 16, v16
	s_waitcnt lgkmcnt(0)
	v_add_u32_e32 v9, v10, v9
	ds_write_b32 v14, v9 offset:64
	s_waitcnt lgkmcnt(0)
	s_and_saveexec_b64 s[14:15], s[0:1]
	s_cbranch_execz .LBB0_10
; %bb.8:                                ;   in Loop: Header=BB0_7 Depth=1
	ds_read_b32 v9, v18
	v_mov_b32_e32 v10, s11
	s_mov_b64 s[16:17], 0
	s_waitcnt lgkmcnt(0)
	v_add_u32_e32 v21, v2, v9
	v_ashrrev_i32_e32 v23, 31, v21
	v_add_co_u32_e64 v9, s[0:1], s10, v21
	v_add_u32_e32 v22, v21, v20
	v_addc_co_u32_e64 v10, s[0:1], v10, v23, s[0:1]
.LBB0_9:                                ;   Parent Loop BB0_7 Depth=1
                                        ; =>  This Inner Loop Header: Depth=2
	v_add_u32_e32 v21, 1, v21
	global_store_byte v[9:10], v7, off
	v_lshrrev_b64 v[7:8], 8, v[7:8]
	v_add_co_u32_e64 v9, s[0:1], 1, v9
	v_cmp_ge_i32_e64 s[2:3], v21, v22
	s_or_b64 s[16:17], s[2:3], s[16:17]
	v_addc_co_u32_e64 v10, s[0:1], 0, v10, s[0:1]
	s_andn2_b64 exec, exec, s[16:17]
	s_cbranch_execnz .LBB0_9
.LBB0_10:                               ;   in Loop: Header=BB0_7 Depth=1
	s_or_b64 exec, exec, s[14:15]
	ds_read_b32 v9, v13 offset:188
	v_cmp_lt_u32_e64 s[0:1], 2, v20
	v_subbrev_co_u32_e64 v7, s[0:1], 0, v20, s[0:1]
	v_or_b32_e32 v19, v7, v19
	ds_write_b32 v14, v19 offset:64
	s_waitcnt lgkmcnt(0)
	s_and_saveexec_b64 s[2:3], vcc
	s_cbranch_execz .LBB0_6
; %bb.11:                               ;   in Loop: Header=BB0_7 Depth=1
	v_add_u32_e32 v7, v16, v0
	ds_read_b32 v16, v14 offset:60
	v_ashrrev_i32_e32 v8, 31, v7
	v_mov_b32_e32 v10, s11
	v_add_co_u32_e64 v7, s[0:1], s10, v7
	v_addc_co_u32_e64 v8, s[0:1], v10, v8, s[0:1]
	s_waitcnt lgkmcnt(0)
	v_lshl_or_b32 v10, v19, 4, v16
	global_store_byte v[7:8], v10, off
	s_branch .LBB0_6
.LBB0_12:
	s_or_b64 exec, exec, s[4:5]
	s_or_b64 exec, exec, s[12:13]
	v_cmp_eq_u32_e32 vcc, 31, v11
	s_and_saveexec_b64 s[0:1], vcc
	s_cbranch_execz .LBB0_4
.LBB0_13:
	s_waitcnt lgkmcnt(0)
	global_store_dword v12, v16, s[6:7]
	s_endpgm
	.section	.rodata,"a",@progbits
	.p2align	6, 0x0
	.amdhsa_kernel _Z17CompressionKerneliPKyPcPKiPi
		.amdhsa_group_segment_fixed_size 6144
		.amdhsa_private_segment_fixed_size 0
		.amdhsa_kernarg_size 296
		.amdhsa_user_sgpr_count 6
		.amdhsa_user_sgpr_private_segment_buffer 1
		.amdhsa_user_sgpr_dispatch_ptr 0
		.amdhsa_user_sgpr_queue_ptr 0
		.amdhsa_user_sgpr_kernarg_segment_ptr 1
		.amdhsa_user_sgpr_dispatch_id 0
		.amdhsa_user_sgpr_flat_scratch_init 0
		.amdhsa_user_sgpr_private_segment_size 0
		.amdhsa_uses_dynamic_stack 0
		.amdhsa_system_sgpr_private_segment_wavefront_offset 0
		.amdhsa_system_sgpr_workgroup_id_x 1
		.amdhsa_system_sgpr_workgroup_id_y 0
		.amdhsa_system_sgpr_workgroup_id_z 0
		.amdhsa_system_sgpr_workgroup_info 0
		.amdhsa_system_vgpr_workitem_id 0
		.amdhsa_next_free_vgpr 29
		.amdhsa_next_free_sgpr 61
		.amdhsa_reserve_vcc 1
		.amdhsa_reserve_flat_scratch 0
		.amdhsa_float_round_mode_32 0
		.amdhsa_float_round_mode_16_64 0
		.amdhsa_float_denorm_mode_32 3
		.amdhsa_float_denorm_mode_16_64 3
		.amdhsa_dx10_clamp 1
		.amdhsa_ieee_mode 1
		.amdhsa_fp16_overflow 0
		.amdhsa_exception_fp_ieee_invalid_op 0
		.amdhsa_exception_fp_denorm_src 0
		.amdhsa_exception_fp_ieee_div_zero 0
		.amdhsa_exception_fp_ieee_overflow 0
		.amdhsa_exception_fp_ieee_underflow 0
		.amdhsa_exception_fp_ieee_inexact 0
		.amdhsa_exception_int_div_zero 0
	.end_amdhsa_kernel
	.text
.Lfunc_end0:
	.size	_Z17CompressionKerneliPKyPcPKiPi, .Lfunc_end0-_Z17CompressionKerneliPKyPcPKiPi
                                        ; -- End function
	.set _Z17CompressionKerneliPKyPcPKiPi.num_vgpr, 24
	.set _Z17CompressionKerneliPKyPcPKiPi.num_agpr, 0
	.set _Z17CompressionKerneliPKyPcPKiPi.numbered_sgpr, 18
	.set _Z17CompressionKerneliPKyPcPKiPi.num_named_barrier, 0
	.set _Z17CompressionKerneliPKyPcPKiPi.private_seg_size, 0
	.set _Z17CompressionKerneliPKyPcPKiPi.uses_vcc, 1
	.set _Z17CompressionKerneliPKyPcPKiPi.uses_flat_scratch, 0
	.set _Z17CompressionKerneliPKyPcPKiPi.has_dyn_sized_stack, 0
	.set _Z17CompressionKerneliPKyPcPKiPi.has_recursion, 0
	.set _Z17CompressionKerneliPKyPcPKiPi.has_indirect_call, 0
	.section	.AMDGPU.csdata,"",@progbits
; Kernel info:
; codeLenInByte = 1000
; TotalNumSgprs: 22
; NumVgprs: 24
; ScratchSize: 0
; MemoryBound: 0
; FloatMode: 240
; IeeeMode: 1
; LDSByteSize: 6144 bytes/workgroup (compile time only)
; SGPRBlocks: 8
; VGPRBlocks: 7
; NumSGPRsForWavesPerEU: 65
; NumVGPRsForWavesPerEU: 29
; Occupancy: 8
; WaveLimiterHint : 0
; COMPUTE_PGM_RSRC2:SCRATCH_EN: 0
; COMPUTE_PGM_RSRC2:USER_SGPR: 6
; COMPUTE_PGM_RSRC2:TRAP_HANDLER: 0
; COMPUTE_PGM_RSRC2:TGID_X_EN: 1
; COMPUTE_PGM_RSRC2:TGID_Y_EN: 0
; COMPUTE_PGM_RSRC2:TGID_Z_EN: 0
; COMPUTE_PGM_RSRC2:TIDIG_COMP_CNT: 0
	.section	.AMDGPU.gpr_maximums,"",@progbits
	.set amdgpu.max_num_vgpr, 0
	.set amdgpu.max_num_agpr, 0
	.set amdgpu.max_num_sgpr, 0
	.section	.AMDGPU.csdata,"",@progbits
	.type	__hip_cuid_994b36d86fa86137,@object ; @__hip_cuid_994b36d86fa86137
	.section	.bss,"aw",@nobits
	.globl	__hip_cuid_994b36d86fa86137
__hip_cuid_994b36d86fa86137:
	.byte	0                               ; 0x0
	.size	__hip_cuid_994b36d86fa86137, 1

	.ident	"AMD clang version 22.0.0git (https://github.com/RadeonOpenCompute/llvm-project roc-7.2.4 26084 f58b06dce1f9c15707c5f808fd002e18c2accf7e)"
	.section	".note.GNU-stack","",@progbits
	.addrsig
	.addrsig_sym __hip_cuid_994b36d86fa86137
	.amdgpu_metadata
---
amdhsa.kernels:
  - .args:
      - .offset:         0
        .size:           4
        .value_kind:     by_value
      - .actual_access:  read_only
        .address_space:  global
        .offset:         8
        .size:           8
        .value_kind:     global_buffer
      - .actual_access:  write_only
        .address_space:  global
        .offset:         16
        .size:           8
        .value_kind:     global_buffer
      - .actual_access:  read_only
        .address_space:  global
        .offset:         24
        .size:           8
        .value_kind:     global_buffer
      - .actual_access:  write_only
        .address_space:  global
        .offset:         32
        .size:           8
        .value_kind:     global_buffer
      - .offset:         40
        .size:           4
        .value_kind:     hidden_block_count_x
      - .offset:         44
        .size:           4
        .value_kind:     hidden_block_count_y
      - .offset:         48
        .size:           4
        .value_kind:     hidden_block_count_z
      - .offset:         52
        .size:           2
        .value_kind:     hidden_group_size_x
      - .offset:         54
        .size:           2
        .value_kind:     hidden_group_size_y
      - .offset:         56
        .size:           2
        .value_kind:     hidden_group_size_z
      - .offset:         58
        .size:           2
        .value_kind:     hidden_remainder_x
      - .offset:         60
        .size:           2
        .value_kind:     hidden_remainder_y
      - .offset:         62
        .size:           2
        .value_kind:     hidden_remainder_z
      - .offset:         80
        .size:           8
        .value_kind:     hidden_global_offset_x
      - .offset:         88
        .size:           8
        .value_kind:     hidden_global_offset_y
      - .offset:         96
        .size:           8
        .value_kind:     hidden_global_offset_z
      - .offset:         104
        .size:           2
        .value_kind:     hidden_grid_dims
    .group_segment_fixed_size: 6144
    .kernarg_segment_align: 8
    .kernarg_segment_size: 296
    .language:       OpenCL C
    .language_version:
      - 2
      - 0
    .max_flat_workgroup_size: 1024
    .name:           _Z17CompressionKerneliPKyPcPKiPi
    .private_segment_fixed_size: 0
    .sgpr_count:     22
    .sgpr_spill_count: 0
    .symbol:         _Z17CompressionKerneliPKyPcPKiPi.kd
    .uniform_work_group_size: 1
    .uses_dynamic_stack: false
    .vgpr_count:     24
    .vgpr_spill_count: 0
    .wavefront_size: 64
amdhsa.target:   amdgcn-amd-amdhsa--gfx906
amdhsa.version:
  - 1
  - 2
...

	.end_amdgpu_metadata
